;; amdgpu-corpus repo=ROCm/rocFFT kind=compiled arch=gfx1201 opt=O3
	.text
	.amdgcn_target "amdgcn-amd-amdhsa--gfx1201"
	.amdhsa_code_object_version 6
	.protected	fft_rtc_fwd_len330_factors_11_10_3_wgs_99_tpt_33_half_op_CI_CI_unitstride_sbrr_C2R_dirReg ; -- Begin function fft_rtc_fwd_len330_factors_11_10_3_wgs_99_tpt_33_half_op_CI_CI_unitstride_sbrr_C2R_dirReg
	.globl	fft_rtc_fwd_len330_factors_11_10_3_wgs_99_tpt_33_half_op_CI_CI_unitstride_sbrr_C2R_dirReg
	.p2align	8
	.type	fft_rtc_fwd_len330_factors_11_10_3_wgs_99_tpt_33_half_op_CI_CI_unitstride_sbrr_C2R_dirReg,@function
fft_rtc_fwd_len330_factors_11_10_3_wgs_99_tpt_33_half_op_CI_CI_unitstride_sbrr_C2R_dirReg: ; @fft_rtc_fwd_len330_factors_11_10_3_wgs_99_tpt_33_half_op_CI_CI_unitstride_sbrr_C2R_dirReg
; %bb.0:
	s_load_b128 s[8:11], s[0:1], 0x0
	v_mul_u32_u24_e32 v1, 0x7c2, v0
	s_clause 0x1
	s_load_b128 s[4:7], s[0:1], 0x58
	s_load_b128 s[12:15], s[0:1], 0x18
	v_mov_b32_e32 v9, 0
	v_mov_b32_e32 v7, 0
	;; [unrolled: 1-line block ×3, first 2 shown]
	v_lshrrev_b32_e32 v1, 16, v1
	s_delay_alu instid0(VALU_DEP_1) | instskip(NEXT) | instid1(VALU_DEP_4)
	v_mad_co_u64_u32 v[3:4], null, ttmp9, 3, v[1:2]
	v_dual_mov_b32 v4, v9 :: v_dual_mov_b32 v1, v7
	s_delay_alu instid0(VALU_DEP_4) | instskip(NEXT) | instid1(VALU_DEP_2)
	v_mov_b32_e32 v2, v8
	v_dual_mov_b32 v6, v4 :: v_dual_mov_b32 v5, v3
	s_wait_kmcnt 0x0
	v_cmp_lt_u64_e64 s2, s[10:11], 2
	s_delay_alu instid0(VALU_DEP_1)
	s_and_b32 vcc_lo, exec_lo, s2
	s_cbranch_vccnz .LBB0_8
; %bb.1:
	s_load_b64 s[2:3], s[0:1], 0x10
	v_dual_mov_b32 v7, 0 :: v_dual_mov_b32 v12, v4
	v_dual_mov_b32 v8, 0 :: v_dual_mov_b32 v11, v3
	s_delay_alu instid0(VALU_DEP_2) | instskip(SKIP_2) | instid1(VALU_DEP_2)
	v_mov_b32_e32 v1, v7
	s_add_nc_u64 s[16:17], s[14:15], 8
	s_add_nc_u64 s[18:19], s[12:13], 8
	v_mov_b32_e32 v2, v8
	s_mov_b64 s[20:21], 1
	s_wait_kmcnt 0x0
	s_add_nc_u64 s[22:23], s[2:3], 8
	s_mov_b32 s3, 0
.LBB0_2:                                ; =>This Inner Loop Header: Depth=1
	s_load_b64 s[24:25], s[22:23], 0x0
                                        ; implicit-def: $vgpr5_vgpr6
	s_mov_b32 s2, exec_lo
	s_wait_kmcnt 0x0
	v_or_b32_e32 v10, s25, v12
	s_delay_alu instid0(VALU_DEP_1)
	v_cmpx_ne_u64_e32 0, v[9:10]
	s_wait_alu 0xfffe
	s_xor_b32 s26, exec_lo, s2
	s_cbranch_execz .LBB0_4
; %bb.3:                                ;   in Loop: Header=BB0_2 Depth=1
	s_cvt_f32_u32 s2, s24
	s_cvt_f32_u32 s27, s25
	s_sub_nc_u64 s[30:31], 0, s[24:25]
	s_wait_alu 0xfffe
	s_delay_alu instid0(SALU_CYCLE_1) | instskip(SKIP_1) | instid1(SALU_CYCLE_2)
	s_fmamk_f32 s2, s27, 0x4f800000, s2
	s_wait_alu 0xfffe
	v_s_rcp_f32 s2, s2
	s_delay_alu instid0(TRANS32_DEP_1) | instskip(SKIP_1) | instid1(SALU_CYCLE_2)
	s_mul_f32 s2, s2, 0x5f7ffffc
	s_wait_alu 0xfffe
	s_mul_f32 s27, s2, 0x2f800000
	s_wait_alu 0xfffe
	s_delay_alu instid0(SALU_CYCLE_2) | instskip(SKIP_1) | instid1(SALU_CYCLE_2)
	s_trunc_f32 s27, s27
	s_wait_alu 0xfffe
	s_fmamk_f32 s2, s27, 0xcf800000, s2
	s_cvt_u32_f32 s29, s27
	s_wait_alu 0xfffe
	s_delay_alu instid0(SALU_CYCLE_1) | instskip(SKIP_1) | instid1(SALU_CYCLE_2)
	s_cvt_u32_f32 s28, s2
	s_wait_alu 0xfffe
	s_mul_u64 s[34:35], s[30:31], s[28:29]
	s_wait_alu 0xfffe
	s_mul_hi_u32 s37, s28, s35
	s_mul_i32 s36, s28, s35
	s_mul_hi_u32 s2, s28, s34
	s_mul_i32 s33, s29, s34
	s_wait_alu 0xfffe
	s_add_nc_u64 s[36:37], s[2:3], s[36:37]
	s_mul_hi_u32 s27, s29, s34
	s_mul_hi_u32 s38, s29, s35
	s_add_co_u32 s2, s36, s33
	s_wait_alu 0xfffe
	s_add_co_ci_u32 s2, s37, s27
	s_mul_i32 s34, s29, s35
	s_add_co_ci_u32 s35, s38, 0
	s_wait_alu 0xfffe
	s_add_nc_u64 s[34:35], s[2:3], s[34:35]
	s_wait_alu 0xfffe
	v_add_co_u32 v4, s2, s28, s34
	s_delay_alu instid0(VALU_DEP_1) | instskip(SKIP_1) | instid1(VALU_DEP_1)
	s_cmp_lg_u32 s2, 0
	s_add_co_ci_u32 s29, s29, s35
	v_readfirstlane_b32 s28, v4
	s_wait_alu 0xfffe
	s_delay_alu instid0(VALU_DEP_1)
	s_mul_u64 s[30:31], s[30:31], s[28:29]
	s_wait_alu 0xfffe
	s_mul_hi_u32 s35, s28, s31
	s_mul_i32 s34, s28, s31
	s_mul_hi_u32 s2, s28, s30
	s_mul_i32 s33, s29, s30
	s_wait_alu 0xfffe
	s_add_nc_u64 s[34:35], s[2:3], s[34:35]
	s_mul_hi_u32 s27, s29, s30
	s_mul_hi_u32 s28, s29, s31
	s_wait_alu 0xfffe
	s_add_co_u32 s2, s34, s33
	s_add_co_ci_u32 s2, s35, s27
	s_mul_i32 s30, s29, s31
	s_add_co_ci_u32 s31, s28, 0
	s_wait_alu 0xfffe
	s_add_nc_u64 s[30:31], s[2:3], s[30:31]
	s_wait_alu 0xfffe
	v_add_co_u32 v6, s2, v4, s30
	s_delay_alu instid0(VALU_DEP_1) | instskip(SKIP_1) | instid1(VALU_DEP_1)
	s_cmp_lg_u32 s2, 0
	s_add_co_ci_u32 s2, s29, s31
	v_mul_hi_u32 v10, v11, v6
	s_wait_alu 0xfffe
	v_mad_co_u64_u32 v[4:5], null, v11, s2, 0
	v_mad_co_u64_u32 v[13:14], null, v12, v6, 0
	;; [unrolled: 1-line block ×3, first 2 shown]
	s_delay_alu instid0(VALU_DEP_3) | instskip(SKIP_1) | instid1(VALU_DEP_4)
	v_add_co_u32 v4, vcc_lo, v10, v4
	s_wait_alu 0xfffd
	v_add_co_ci_u32_e32 v5, vcc_lo, 0, v5, vcc_lo
	s_delay_alu instid0(VALU_DEP_2) | instskip(SKIP_1) | instid1(VALU_DEP_2)
	v_add_co_u32 v4, vcc_lo, v4, v13
	s_wait_alu 0xfffd
	v_add_co_ci_u32_e32 v4, vcc_lo, v5, v14, vcc_lo
	s_wait_alu 0xfffd
	v_add_co_ci_u32_e32 v5, vcc_lo, 0, v16, vcc_lo
	s_delay_alu instid0(VALU_DEP_2) | instskip(SKIP_1) | instid1(VALU_DEP_2)
	v_add_co_u32 v10, vcc_lo, v4, v15
	s_wait_alu 0xfffd
	v_add_co_ci_u32_e32 v6, vcc_lo, 0, v5, vcc_lo
	s_delay_alu instid0(VALU_DEP_2) | instskip(SKIP_1) | instid1(VALU_DEP_3)
	v_mul_lo_u32 v13, s25, v10
	v_mad_co_u64_u32 v[4:5], null, s24, v10, 0
	v_mul_lo_u32 v14, s24, v6
	s_delay_alu instid0(VALU_DEP_2) | instskip(NEXT) | instid1(VALU_DEP_2)
	v_sub_co_u32 v4, vcc_lo, v11, v4
	v_add3_u32 v5, v5, v14, v13
	s_delay_alu instid0(VALU_DEP_1) | instskip(SKIP_1) | instid1(VALU_DEP_1)
	v_sub_nc_u32_e32 v13, v12, v5
	s_wait_alu 0xfffd
	v_subrev_co_ci_u32_e64 v13, s2, s25, v13, vcc_lo
	v_add_co_u32 v14, s2, v10, 2
	s_wait_alu 0xf1ff
	v_add_co_ci_u32_e64 v15, s2, 0, v6, s2
	v_sub_co_u32 v16, s2, v4, s24
	v_sub_co_ci_u32_e32 v5, vcc_lo, v12, v5, vcc_lo
	s_wait_alu 0xf1ff
	v_subrev_co_ci_u32_e64 v13, s2, 0, v13, s2
	s_delay_alu instid0(VALU_DEP_3) | instskip(NEXT) | instid1(VALU_DEP_3)
	v_cmp_le_u32_e32 vcc_lo, s24, v16
	v_cmp_eq_u32_e64 s2, s25, v5
	s_wait_alu 0xfffd
	v_cndmask_b32_e64 v16, 0, -1, vcc_lo
	v_cmp_le_u32_e32 vcc_lo, s25, v13
	s_wait_alu 0xfffd
	v_cndmask_b32_e64 v17, 0, -1, vcc_lo
	v_cmp_le_u32_e32 vcc_lo, s24, v4
	;; [unrolled: 3-line block ×3, first 2 shown]
	s_wait_alu 0xfffd
	v_cndmask_b32_e64 v18, 0, -1, vcc_lo
	v_cmp_eq_u32_e32 vcc_lo, s25, v13
	s_wait_alu 0xf1ff
	s_delay_alu instid0(VALU_DEP_2)
	v_cndmask_b32_e64 v4, v18, v4, s2
	s_wait_alu 0xfffd
	v_cndmask_b32_e32 v13, v17, v16, vcc_lo
	v_add_co_u32 v16, vcc_lo, v10, 1
	s_wait_alu 0xfffd
	v_add_co_ci_u32_e32 v17, vcc_lo, 0, v6, vcc_lo
	s_delay_alu instid0(VALU_DEP_3) | instskip(SKIP_1) | instid1(VALU_DEP_2)
	v_cmp_ne_u32_e32 vcc_lo, 0, v13
	s_wait_alu 0xfffd
	v_cndmask_b32_e32 v5, v17, v15, vcc_lo
	v_cndmask_b32_e32 v13, v16, v14, vcc_lo
	v_cmp_ne_u32_e32 vcc_lo, 0, v4
	s_wait_alu 0xfffd
	s_delay_alu instid0(VALU_DEP_3) | instskip(NEXT) | instid1(VALU_DEP_3)
	v_cndmask_b32_e32 v6, v6, v5, vcc_lo
	v_cndmask_b32_e32 v5, v10, v13, vcc_lo
.LBB0_4:                                ;   in Loop: Header=BB0_2 Depth=1
	s_wait_alu 0xfffe
	s_and_not1_saveexec_b32 s2, s26
	s_cbranch_execz .LBB0_6
; %bb.5:                                ;   in Loop: Header=BB0_2 Depth=1
	v_cvt_f32_u32_e32 v4, s24
	s_sub_co_i32 s26, 0, s24
	s_delay_alu instid0(VALU_DEP_1) | instskip(NEXT) | instid1(TRANS32_DEP_1)
	v_rcp_iflag_f32_e32 v4, v4
	v_mul_f32_e32 v4, 0x4f7ffffe, v4
	s_delay_alu instid0(VALU_DEP_1) | instskip(SKIP_1) | instid1(VALU_DEP_1)
	v_cvt_u32_f32_e32 v4, v4
	s_wait_alu 0xfffe
	v_mul_lo_u32 v5, s26, v4
	s_delay_alu instid0(VALU_DEP_1) | instskip(NEXT) | instid1(VALU_DEP_1)
	v_mul_hi_u32 v5, v4, v5
	v_add_nc_u32_e32 v4, v4, v5
	s_delay_alu instid0(VALU_DEP_1) | instskip(NEXT) | instid1(VALU_DEP_1)
	v_mul_hi_u32 v4, v11, v4
	v_mul_lo_u32 v5, v4, s24
	v_add_nc_u32_e32 v6, 1, v4
	s_delay_alu instid0(VALU_DEP_2) | instskip(NEXT) | instid1(VALU_DEP_1)
	v_sub_nc_u32_e32 v5, v11, v5
	v_subrev_nc_u32_e32 v10, s24, v5
	v_cmp_le_u32_e32 vcc_lo, s24, v5
	s_wait_alu 0xfffd
	s_delay_alu instid0(VALU_DEP_2) | instskip(SKIP_1) | instid1(VALU_DEP_2)
	v_cndmask_b32_e32 v5, v5, v10, vcc_lo
	v_cndmask_b32_e32 v4, v4, v6, vcc_lo
	v_cmp_le_u32_e32 vcc_lo, s24, v5
	s_delay_alu instid0(VALU_DEP_2) | instskip(SKIP_1) | instid1(VALU_DEP_1)
	v_add_nc_u32_e32 v6, 1, v4
	s_wait_alu 0xfffd
	v_dual_cndmask_b32 v5, v4, v6 :: v_dual_mov_b32 v6, v9
.LBB0_6:                                ;   in Loop: Header=BB0_2 Depth=1
	s_wait_alu 0xfffe
	s_or_b32 exec_lo, exec_lo, s2
	s_delay_alu instid0(VALU_DEP_1) | instskip(NEXT) | instid1(VALU_DEP_2)
	v_mul_lo_u32 v4, v6, s24
	v_mul_lo_u32 v10, v5, s25
	s_load_b64 s[26:27], s[18:19], 0x0
	v_mad_co_u64_u32 v[13:14], null, v5, s24, 0
	s_load_b64 s[24:25], s[16:17], 0x0
	s_add_nc_u64 s[20:21], s[20:21], 1
	s_add_nc_u64 s[16:17], s[16:17], 8
	s_wait_alu 0xfffe
	v_cmp_ge_u64_e64 s2, s[20:21], s[10:11]
	s_add_nc_u64 s[18:19], s[18:19], 8
	s_add_nc_u64 s[22:23], s[22:23], 8
	v_add3_u32 v4, v14, v10, v4
	v_sub_co_u32 v10, vcc_lo, v11, v13
	s_wait_alu 0xfffd
	s_delay_alu instid0(VALU_DEP_2) | instskip(SKIP_2) | instid1(VALU_DEP_1)
	v_sub_co_ci_u32_e32 v4, vcc_lo, v12, v4, vcc_lo
	s_and_b32 vcc_lo, exec_lo, s2
	s_wait_kmcnt 0x0
	v_mul_lo_u32 v11, s26, v4
	v_mul_lo_u32 v12, s27, v10
	v_mad_co_u64_u32 v[7:8], null, s26, v10, v[7:8]
	v_mul_lo_u32 v4, s24, v4
	v_mul_lo_u32 v13, s25, v10
	v_mad_co_u64_u32 v[1:2], null, s24, v10, v[1:2]
	s_delay_alu instid0(VALU_DEP_4) | instskip(NEXT) | instid1(VALU_DEP_2)
	v_add3_u32 v8, v12, v8, v11
	v_add3_u32 v2, v13, v2, v4
	s_wait_alu 0xfffe
	s_cbranch_vccnz .LBB0_8
; %bb.7:                                ;   in Loop: Header=BB0_2 Depth=1
	v_dual_mov_b32 v12, v6 :: v_dual_mov_b32 v11, v5
	s_branch .LBB0_2
.LBB0_8:
	s_load_b64 s[0:1], s[0:1], 0x28
	v_mul_hi_u32 v4, 0xaaaaaaab, v3
	s_lshl_b64 s[10:11], s[10:11], 3
	s_wait_alu 0xfffe
	s_add_nc_u64 s[2:3], s[14:15], s[10:11]
	s_delay_alu instid0(VALU_DEP_1) | instskip(NEXT) | instid1(VALU_DEP_1)
	v_lshrrev_b32_e32 v4, 1, v4
	v_lshl_add_u32 v9, v4, 1, v4
	v_mul_hi_u32 v4, 0x7c1f07d, v0
	s_delay_alu instid0(VALU_DEP_2) | instskip(SKIP_3) | instid1(VALU_DEP_1)
	v_sub_nc_u32_e32 v9, v3, v9
	s_wait_kmcnt 0x0
	v_cmp_gt_u64_e32 vcc_lo, s[0:1], v[5:6]
	v_cmp_le_u64_e64 s0, s[0:1], v[5:6]
                                        ; implicit-def: $vgpr3
	s_and_saveexec_b32 s1, s0
	s_wait_alu 0xfffe
	s_xor_b32 s0, exec_lo, s1
; %bb.9:
	v_mul_u32_u24_e32 v3, 33, v4
                                        ; implicit-def: $vgpr4
                                        ; implicit-def: $vgpr7_vgpr8
	s_delay_alu instid0(VALU_DEP_1)
	v_sub_nc_u32_e32 v3, v0, v3
                                        ; implicit-def: $vgpr0
; %bb.10:
	s_wait_alu 0xfffe
	s_or_saveexec_b32 s1, s0
	s_load_b64 s[2:3], s[2:3], 0x0
	v_mul_u32_u24_e32 v9, 0x14b, v9
	s_delay_alu instid0(VALU_DEP_1)
	v_lshlrev_b32_e32 v21, 2, v9
	s_xor_b32 exec_lo, exec_lo, s1
	s_cbranch_execz .LBB0_14
; %bb.11:
	s_add_nc_u64 s[10:11], s[12:13], s[10:11]
	v_lshlrev_b64_e32 v[7:8], 2, v[7:8]
	s_load_b64 s[10:11], s[10:11], 0x0
	s_wait_kmcnt 0x0
	v_mul_lo_u32 v3, s11, v5
	v_mul_lo_u32 v12, s10, v6
	v_mad_co_u64_u32 v[10:11], null, s10, v5, 0
	s_delay_alu instid0(VALU_DEP_1) | instskip(SKIP_1) | instid1(VALU_DEP_2)
	v_add3_u32 v11, v11, v12, v3
	v_mul_u32_u24_e32 v3, 33, v4
	v_lshlrev_b64_e32 v[10:11], 2, v[10:11]
	s_delay_alu instid0(VALU_DEP_2) | instskip(NEXT) | instid1(VALU_DEP_1)
	v_sub_nc_u32_e32 v3, v0, v3
	v_lshlrev_b32_e32 v12, 2, v3
	s_delay_alu instid0(VALU_DEP_3) | instskip(SKIP_1) | instid1(VALU_DEP_4)
	v_add_co_u32 v0, s0, s4, v10
	s_wait_alu 0xf1ff
	v_add_co_ci_u32_e64 v4, s0, s5, v11, s0
	s_mov_b32 s4, exec_lo
	s_delay_alu instid0(VALU_DEP_2) | instskip(SKIP_1) | instid1(VALU_DEP_2)
	v_add_co_u32 v7, s0, v0, v7
	s_wait_alu 0xf1ff
	v_add_co_ci_u32_e64 v8, s0, v4, v8, s0
	v_add3_u32 v0, 0, v21, v12
	s_delay_alu instid0(VALU_DEP_3) | instskip(SKIP_1) | instid1(VALU_DEP_3)
	v_add_co_u32 v10, s0, v7, v12
	s_wait_alu 0xf1ff
	v_add_co_ci_u32_e64 v11, s0, 0, v8, s0
	s_clause 0x9
	global_load_b32 v4, v[10:11], off
	global_load_b32 v13, v[10:11], off offset:132
	global_load_b32 v14, v[10:11], off offset:264
	;; [unrolled: 1-line block ×9, first 2 shown]
	v_add_nc_u32_e32 v11, 0x400, v0
	s_wait_loadcnt 0x8
	ds_store_2addr_b32 v0, v4, v13 offset1:33
	s_wait_loadcnt 0x6
	ds_store_2addr_b32 v0, v14, v15 offset0:66 offset1:99
	s_wait_loadcnt 0x4
	ds_store_2addr_b32 v0, v16, v17 offset0:132 offset1:165
	;; [unrolled: 2-line block ×4, first 2 shown]
	v_cmpx_eq_u32_e32 32, v3
	s_cbranch_execz .LBB0_13
; %bb.12:
	global_load_b32 v4, v[7:8], off offset:1320
	v_mov_b32_e32 v3, 32
	s_wait_loadcnt 0x0
	ds_store_b32 v0, v4 offset:1192
.LBB0_13:
	s_wait_alu 0xfffe
	s_or_b32 exec_lo, exec_lo, s4
.LBB0_14:
	s_delay_alu instid0(SALU_CYCLE_1)
	s_or_b32 exec_lo, exec_lo, s1
	v_lshl_add_u32 v0, v9, 2, 0
	v_lshlrev_b32_e32 v4, 2, v3
	global_wb scope:SCOPE_SE
	s_wait_dscnt 0x0
	s_wait_kmcnt 0x0
	s_barrier_signal -1
	s_barrier_wait -1
	global_inv scope:SCOPE_SE
	v_add_nc_u32_e32 v19, v0, v4
	v_sub_nc_u32_e32 v10, v0, v4
	s_mov_b32 s1, exec_lo
                                        ; implicit-def: $vgpr7_vgpr8
	ds_load_u16 v13, v19
	ds_load_u16 v14, v10 offset:1320
	s_wait_dscnt 0x0
	v_add_f16_e32 v12, v14, v13
	v_sub_f16_e32 v11, v13, v14
	v_cmpx_ne_u32_e32 0, v3
	s_wait_alu 0xfffe
	s_xor_b32 s1, exec_lo, s1
	s_cbranch_execz .LBB0_16
; %bb.15:
	v_mov_b32_e32 v4, 0
	v_add_f16_e32 v12, v14, v13
	v_sub_f16_e32 v13, v13, v14
	s_delay_alu instid0(VALU_DEP_3) | instskip(NEXT) | instid1(VALU_DEP_1)
	v_lshlrev_b64_e32 v[7:8], 2, v[3:4]
	v_add_co_u32 v7, s0, s8, v7
	s_wait_alu 0xf1ff
	s_delay_alu instid0(VALU_DEP_2)
	v_add_co_ci_u32_e64 v8, s0, s9, v8, s0
	global_load_b32 v7, v[7:8], off offset:1276
	ds_load_u16 v8, v10 offset:1322
	ds_load_u16 v11, v19 offset:2
	s_wait_dscnt 0x0
	v_add_f16_e32 v14, v8, v11
	v_sub_f16_e32 v8, v11, v8
	s_wait_loadcnt 0x0
	v_lshrrev_b32_e32 v15, 16, v7
	s_delay_alu instid0(VALU_DEP_1) | instskip(NEXT) | instid1(VALU_DEP_3)
	v_fma_f16 v16, -v13, v15, v12
	v_fma_f16 v17, v14, v15, -v8
	v_fma_f16 v11, v14, v15, v8
	v_fma_f16 v12, v13, v15, v12
	s_delay_alu instid0(VALU_DEP_4) | instskip(NEXT) | instid1(VALU_DEP_4)
	v_fmac_f16_e32 v16, v7, v14
	v_fmac_f16_e32 v17, v13, v7
	s_delay_alu instid0(VALU_DEP_4) | instskip(NEXT) | instid1(VALU_DEP_4)
	v_fmac_f16_e32 v11, v13, v7
	v_fma_f16 v12, -v7, v14, v12
	v_dual_mov_b32 v8, v4 :: v_dual_mov_b32 v7, v3
	s_delay_alu instid0(VALU_DEP_4)
	v_pack_b32_f16 v13, v16, v17
	ds_store_b32 v10, v13 offset:1320
.LBB0_16:
	s_wait_alu 0xfffe
	s_and_not1_saveexec_b32 s0, s1
	s_cbranch_execz .LBB0_18
; %bb.17:
	ds_load_b32 v4, v0 offset:660
	v_mov_b32_e32 v7, 0
	v_mov_b32_e32 v8, 0
	s_wait_dscnt 0x0
	v_pk_mul_f16 v4, 0xc0004000, v4
	ds_store_b32 v0, v4 offset:660
.LBB0_18:
	s_wait_alu 0xfffe
	s_or_b32 exec_lo, exec_lo, s0
	v_lshlrev_b64_e32 v[7:8], 2, v[7:8]
	s_add_nc_u64 s[0:1], s[8:9], 0x4fc
	v_lshl_add_u32 v25, v3, 2, 0
	s_wait_alu 0xfffe
	s_delay_alu instid0(VALU_DEP_2)
	v_add_co_u32 v7, s0, s0, v7
	s_wait_alu 0xf1ff
	v_add_co_ci_u32_e64 v8, s0, s1, v8, s0
	s_mov_b32 s1, exec_lo
	s_clause 0x3
	global_load_b32 v4, v[7:8], off offset:132
	global_load_b32 v13, v[7:8], off offset:264
	;; [unrolled: 1-line block ×4, first 2 shown]
	v_perm_b32 v8, v11, v12, 0x5040100
	ds_store_b32 v19, v8
	ds_load_b32 v8, v19 offset:132
	ds_load_b32 v11, v10 offset:1188
	s_wait_dscnt 0x1
	v_lshrrev_b32_e32 v12, 16, v8
	s_wait_dscnt 0x0
	v_lshrrev_b32_e32 v15, 16, v11
	v_add_f16_e32 v16, v8, v11
	v_sub_f16_e32 v8, v8, v11
	s_delay_alu instid0(VALU_DEP_3) | instskip(SKIP_3) | instid1(VALU_DEP_1)
	v_add_f16_e32 v11, v15, v12
	v_sub_f16_e32 v12, v12, v15
	s_wait_loadcnt 0x3
	v_lshrrev_b32_e32 v17, 16, v4
	v_fma_f16 v15, v8, v17, v16
	s_delay_alu instid0(VALU_DEP_3) | instskip(SKIP_2) | instid1(VALU_DEP_4)
	v_fma_f16 v18, v11, v17, v12
	v_fma_f16 v16, -v8, v17, v16
	v_fma_f16 v12, v11, v17, -v12
	v_fma_f16 v15, -v4, v11, v15
	s_delay_alu instid0(VALU_DEP_4) | instskip(NEXT) | instid1(VALU_DEP_4)
	v_fmac_f16_e32 v18, v8, v4
	v_fmac_f16_e32 v16, v4, v11
	s_delay_alu instid0(VALU_DEP_4) | instskip(NEXT) | instid1(VALU_DEP_3)
	v_fmac_f16_e32 v12, v8, v4
	v_pack_b32_f16 v4, v15, v18
	s_wait_loadcnt 0x2
	v_lshrrev_b32_e32 v15, 16, v13
	s_delay_alu instid0(VALU_DEP_3)
	v_pack_b32_f16 v8, v16, v12
	ds_store_b32 v19, v4 offset:132
	ds_store_b32 v10, v8 offset:1188
	ds_load_b32 v4, v19 offset:264
	ds_load_b32 v8, v10 offset:1056
	s_wait_dscnt 0x1
	v_lshrrev_b32_e32 v11, 16, v4
	s_wait_dscnt 0x0
	v_lshrrev_b32_e32 v12, 16, v8
	v_add_f16_e32 v16, v4, v8
	v_sub_f16_e32 v4, v4, v8
	s_delay_alu instid0(VALU_DEP_3) | instskip(SKIP_1) | instid1(VALU_DEP_3)
	v_add_f16_e32 v8, v12, v11
	v_sub_f16_e32 v11, v11, v12
	v_fma_f16 v12, v4, v15, v16
	v_fma_f16 v16, -v4, v15, v16
	s_delay_alu instid0(VALU_DEP_3) | instskip(SKIP_1) | instid1(VALU_DEP_4)
	v_fma_f16 v17, v8, v15, v11
	v_fma_f16 v11, v8, v15, -v11
	v_fma_f16 v12, -v13, v8, v12
	s_delay_alu instid0(VALU_DEP_4) | instskip(NEXT) | instid1(VALU_DEP_4)
	v_fmac_f16_e32 v16, v13, v8
	v_fmac_f16_e32 v17, v4, v13
	s_delay_alu instid0(VALU_DEP_4) | instskip(SKIP_2) | instid1(VALU_DEP_3)
	v_fmac_f16_e32 v11, v4, v13
	s_wait_loadcnt 0x1
	v_lshrrev_b32_e32 v13, 16, v14
	v_pack_b32_f16 v4, v12, v17
	s_delay_alu instid0(VALU_DEP_3)
	v_pack_b32_f16 v8, v16, v11
	ds_store_b32 v19, v4 offset:264
	ds_store_b32 v10, v8 offset:1056
	ds_load_b32 v4, v19 offset:396
	ds_load_b32 v8, v10 offset:924
	s_wait_dscnt 0x1
	v_lshrrev_b32_e32 v11, 16, v4
	s_wait_dscnt 0x0
	v_lshrrev_b32_e32 v12, 16, v8
	v_add_f16_e32 v15, v4, v8
	v_sub_f16_e32 v4, v4, v8
	s_delay_alu instid0(VALU_DEP_3) | instskip(SKIP_1) | instid1(VALU_DEP_3)
	v_add_f16_e32 v8, v12, v11
	v_sub_f16_e32 v11, v11, v12
	v_fma_f16 v12, v4, v13, v15
	v_fma_f16 v15, -v4, v13, v15
	s_delay_alu instid0(VALU_DEP_3) | instskip(SKIP_1) | instid1(VALU_DEP_4)
	v_fma_f16 v16, v8, v13, v11
	v_fma_f16 v11, v8, v13, -v11
	v_fma_f16 v12, -v14, v8, v12
	s_delay_alu instid0(VALU_DEP_4) | instskip(SKIP_4) | instid1(VALU_DEP_2)
	v_fmac_f16_e32 v15, v14, v8
	s_wait_loadcnt 0x0
	v_lshrrev_b32_e32 v13, 16, v7
	v_fmac_f16_e32 v16, v4, v14
	v_fmac_f16_e32 v11, v4, v14
	v_pack_b32_f16 v4, v12, v16
	s_delay_alu instid0(VALU_DEP_2)
	v_pack_b32_f16 v8, v15, v11
	ds_store_b32 v19, v4 offset:396
	ds_store_b32 v10, v8 offset:924
	ds_load_b32 v4, v19 offset:528
	ds_load_b32 v8, v10 offset:792
	s_wait_dscnt 0x1
	v_lshrrev_b32_e32 v11, 16, v4
	s_wait_dscnt 0x0
	v_lshrrev_b32_e32 v12, 16, v8
	v_add_f16_e32 v14, v4, v8
	v_sub_f16_e32 v4, v4, v8
	s_delay_alu instid0(VALU_DEP_3) | instskip(SKIP_1) | instid1(VALU_DEP_3)
	v_add_f16_e32 v8, v12, v11
	v_sub_f16_e32 v11, v11, v12
	v_fma_f16 v12, v4, v13, v14
	v_fma_f16 v14, -v4, v13, v14
	s_delay_alu instid0(VALU_DEP_3) | instskip(SKIP_1) | instid1(VALU_DEP_4)
	v_fma_f16 v15, v8, v13, v11
	v_fma_f16 v11, v8, v13, -v11
	v_fma_f16 v12, -v7, v8, v12
	s_delay_alu instid0(VALU_DEP_4) | instskip(NEXT) | instid1(VALU_DEP_4)
	v_fmac_f16_e32 v14, v7, v8
	v_fmac_f16_e32 v15, v4, v7
	s_delay_alu instid0(VALU_DEP_4) | instskip(SKIP_1) | instid1(VALU_DEP_3)
	v_fmac_f16_e32 v11, v4, v7
	v_lshl_add_u32 v4, v9, 2, v25
	v_pack_b32_f16 v7, v12, v15
	s_delay_alu instid0(VALU_DEP_3) | instskip(NEXT) | instid1(VALU_DEP_3)
	v_pack_b32_f16 v8, v14, v11
	v_add_nc_u32_e32 v9, 0x400, v4
	ds_store_b32 v19, v7 offset:528
	ds_store_b32 v10, v8 offset:792
	global_wb scope:SCOPE_SE
	s_wait_dscnt 0x0
	s_barrier_signal -1
	s_barrier_wait -1
	global_inv scope:SCOPE_SE
	global_wb scope:SCOPE_SE
	s_barrier_signal -1
	s_barrier_wait -1
	global_inv scope:SCOPE_SE
	ds_load_b32 v7, v19
	ds_load_2addr_b32 v[17:18], v4 offset0:30 offset1:60
	ds_load_2addr_b32 v[9:10], v9 offset0:14 offset1:44
	;; [unrolled: 1-line block ×5, first 2 shown]
	global_wb scope:SCOPE_SE
	s_wait_dscnt 0x0
	s_barrier_signal -1
	s_barrier_wait -1
	global_inv scope:SCOPE_SE
	v_lshrrev_b32_e32 v33, 16, v7
	v_pk_add_f16 v22, v17, v10 neg_lo:[0,1] neg_hi:[0,1]
	v_pk_add_f16 v29, v10, v17
	v_pk_add_f16 v23, v18, v9 neg_lo:[0,1] neg_hi:[0,1]
	v_pk_add_f16 v30, v9, v18
	v_pk_add_f16 v27, v15, v12 neg_lo:[0,1] neg_hi:[0,1]
	v_lshrrev_b32_e32 v53, 16, v22
	v_lshrrev_b32_e32 v38, 16, v29
	v_mul_f16_e32 v49, 0xb853, v22
	v_lshrrev_b32_e32 v52, 16, v23
	v_pk_add_f16 v31, v12, v15
	v_mul_f16_e32 v48, 0xb853, v53
	v_pk_add_f16 v24, v16, v11 neg_lo:[0,1] neg_hi:[0,1]
	v_lshrrev_b32_e32 v37, 16, v30
	v_mul_f16_e32 v43, 0xbb47, v23
	v_lshrrev_b32_e32 v51, 16, v27
	v_fma_f16 v8, v38, 0x3abb, -v49
	v_mul_f16_e32 v47, 0xbb47, v52
	v_fmamk_f16 v20, v29, 0x3abb, v48
	v_pk_add_f16 v32, v11, v16
	v_pk_add_f16 v26, v13, v14 neg_lo:[0,1] neg_hi:[0,1]
	v_lshrrev_b32_e32 v36, 16, v31
	v_mul_f16_e32 v42, 0xbbeb, v27
	v_lshrrev_b32_e32 v50, 16, v24
	v_fma_f16 v40, v37, 0x36a6, -v43
	v_mul_f16_e32 v46, 0xbbeb, v51
	v_add_f16_e32 v8, v33, v8
	v_fmamk_f16 v54, v30, 0x36a6, v47
	v_add_f16_e32 v20, v7, v20
	v_pk_add_f16 v28, v14, v13
	v_lshrrev_b32_e32 v35, 16, v32
	v_mul_f16_e32 v41, 0xba0c, v24
	v_lshrrev_b32_e32 v44, 16, v26
	v_fma_f16 v55, v36, 0xb08e, -v42
	v_mul_f16_e32 v45, 0xba0c, v50
	v_fmamk_f16 v56, v31, 0xb08e, v46
	v_add_f16_e32 v8, v40, v8
	v_add_f16_e32 v20, v54, v20
	v_lshrrev_b32_e32 v34, 16, v28
	v_mul_f16_e32 v39, 0xb482, v26
	v_fma_f16 v54, v35, 0xb93d, -v41
	v_mul_f16_e32 v40, 0xb482, v44
	v_fmamk_f16 v57, v32, 0xb93d, v45
	v_add_f16_e32 v8, v55, v8
	v_add_f16_e32 v20, v56, v20
	v_fma_f16 v55, v34, 0xbbad, -v39
	v_fmamk_f16 v56, v28, 0xbbad, v40
	s_delay_alu instid0(VALU_DEP_4) | instskip(NEXT) | instid1(VALU_DEP_4)
	v_add_f16_e32 v8, v54, v8
	v_add_f16_e32 v54, v57, v20
	s_delay_alu instid0(VALU_DEP_2) | instskip(NEXT) | instid1(VALU_DEP_2)
	v_add_f16_e32 v20, v55, v8
	v_add_f16_e32 v8, v56, v54
	v_cmpx_gt_u32_e32 30, v3
	s_cbranch_execz .LBB0_20
; %bb.19:
	v_mul_f16_e32 v54, 0xba0c, v22
	v_mul_f16_e32 v58, 0x3beb, v23
	;; [unrolled: 1-line block ×5, first 2 shown]
	v_fmamk_f16 v59, v38, 0xb93d, v54
	v_fmamk_f16 v63, v37, 0xb08e, v58
	v_mul_f16_e32 v66, 0xb482, v24
	v_fmamk_f16 v67, v36, 0x3abb, v62
	v_fmamk_f16 v76, v38, 0xb08e, v73
	v_add_f16_e32 v59, v33, v59
	v_mul_f16_e32 v77, 0x3482, v23
	v_mul_f16_e32 v55, 0x3abb, v29
	;; [unrolled: 1-line block ×3, first 2 shown]
	v_fmamk_f16 v70, v35, 0xbbad, v66
	v_add_f16_e32 v59, v63, v59
	v_add_f16_e32 v76, v33, v76
	v_fmamk_f16 v80, v37, 0xbbad, v77
	v_mul_f16_e32 v81, 0x3b47, v27
	v_add_f16_e32 v49, v49, v56
	v_add_f16_e32 v59, v67, v59
	v_mul_f16_e32 v67, 0xba0c, v53
	v_mul_f16_e32 v57, 0x36a6, v30
	;; [unrolled: 1-line block ×4, first 2 shown]
	v_add_f16_e32 v59, v70, v59
	v_fma_f16 v70, v29, 0xb93d, -v67
	v_mul_f16_e32 v74, 0x3beb, v52
	v_add_f16_e32 v76, v80, v76
	v_fmamk_f16 v80, v36, 0x36a6, v81
	v_mul_f16_e32 v83, 0xb853, v24
	v_sub_f16_e32 v48, v55, v48
	v_add_f16_e32 v49, v33, v49
	v_add_f16_e32 v43, v43, v60
	v_mul_f16_e32 v61, 0xb08e, v31
	v_mul_f16_e32 v63, 0xb93d, v35
	v_fmamk_f16 v75, v26, 0x3b47, v72
	v_add_f16_e32 v70, v7, v70
	v_fma_f16 v78, v30, 0xb08e, -v74
	v_mul_f16_e32 v79, 0xb853, v51
	v_add_f16_e32 v76, v80, v76
	v_fmamk_f16 v80, v35, 0x3abb, v83
	v_mul_f16_e32 v85, 0xba0c, v26
	v_mul_f16_e32 v53, 0xbb47, v53
	v_add_f16_e32 v48, v7, v48
	v_sub_f16_e32 v47, v57, v47
	v_add_f16_e32 v43, v43, v49
	v_add_f16_e32 v42, v42, v64
	v_mul_f16_e32 v65, 0xb93d, v32
	v_add_f16_e32 v70, v78, v70
	v_fma_f16 v78, v31, 0x3abb, -v79
	v_mul_f16_e32 v82, 0xb482, v50
	v_add_f16_e32 v76, v80, v76
	v_fmamk_f16 v80, v34, 0xb93d, v85
	v_add_f16_e32 v59, v75, v59
	v_fma_f16 v75, v29, 0x36a6, -v53
	v_mul_f16_e32 v52, 0xba0c, v52
	v_add_f16_e32 v47, v47, v48
	v_sub_f16_e32 v46, v61, v46
	v_add_f16_e32 v42, v42, v43
	v_add_f16_e32 v41, v41, v63
	v_mul_f16_e32 v68, 0xbbad, v28
	v_add_f16_e32 v70, v78, v70
	v_fma_f16 v78, v32, 0xbbad, -v82
	v_mul_f16_e32 v84, 0x3b47, v44
	v_add_f16_e32 v76, v80, v76
	v_add_f16_e32 v75, v7, v75
	v_fma_f16 v80, v30, 0xb93d, -v52
	v_mul_f16_e32 v51, 0x3482, v51
	v_add_f16_e32 v46, v46, v47
	v_sub_f16_e32 v45, v65, v45
	v_add_f16_e32 v41, v41, v42
	v_fma_f16 v42, v38, 0xb93d, -v54
	v_add_f16_e32 v70, v78, v70
	v_fma_f16 v78, v28, 0x36a6, -v84
	v_add_f16_e32 v75, v80, v75
	v_fma_f16 v80, v31, 0xbbad, -v51
	v_mul_f16_e32 v50, 0x3beb, v50
	v_add_f16_e32 v45, v45, v46
	v_sub_f16_e32 v40, v68, v40
	v_add_f16_e32 v42, v33, v42
	v_fma_f16 v46, v37, 0xb08e, -v58
	v_add_f16_e32 v70, v78, v70
	v_pk_mul_f16 v78, 0x36a6b08e, v29
	v_add_f16_e32 v55, v80, v75
	v_fma_f16 v60, v32, 0xb08e, -v50
	v_mul_f16_e32 v44, 0x3853, v44
	v_add_f16_e32 v40, v40, v45
	v_add_f16_e32 v42, v46, v42
	v_fma_f16 v38, v38, 0xb08e, -v73
	v_fma_f16 v45, v36, 0x3abb, -v62
	v_pk_add_f16 v17, v7, v17
	v_pk_mul_f16 v86, 0xb93dbbad, v30
	v_add_f16_e32 v49, v60, v55
	v_fma_f16 v48, v28, 0x3abb, -v44
	v_add_f16_e32 v38, v33, v38
	v_fma_f16 v37, v37, 0xbbad, -v77
	v_add_f16_e32 v42, v45, v42
	v_pk_fma_f16 v45, 0xbbebbb47, v22, v78 op_sel:[0,0,1] op_sel_hi:[1,1,0]
	v_pk_add_f16 v17, v17, v18
	v_add_f16_e32 v47, v48, v49
	v_add_f16_e32 v37, v37, v38
	v_fma_f16 v36, v36, 0x36a6, -v81
	s_wait_alu 0xf1ff
	v_alignbit_b32 v46, s0, v45, 16
	v_pk_fma_f16 v48, 0x3482ba0c, v23, v86 op_sel:[0,0,1] op_sel_hi:[1,1,0]
	v_pk_add_f16 v15, v17, v15
	v_pk_mul_f16 v87, 0xbbad36a6, v31
	v_fma_f16 v38, v35, 0xbbad, -v66
	v_add_f16_e32 v36, v36, v37
	v_fma_f16 v35, v35, 0x3abb, -v83
	v_pk_add_f16 v37, v7, v46
	v_alignbit_b32 v46, s0, v48, 16
	v_pk_add_f16 v15, v15, v16
	v_mul_f16_e32 v69, 0xbbad, v34
	v_pk_fma_f16 v49, 0x3b473482, v27, v87 op_sel:[0,0,1] op_sel_hi:[1,1,0]
	v_add_f16_e32 v35, v35, v36
	v_fma_f16 v34, v34, 0xb93d, -v85
	v_pk_add_f16 v36, v46, v37
	v_pk_fma_f16 v46, 0xbbebbb47, v22, v78 op_sel:[0,0,1] op_sel_hi:[1,1,0] neg_lo:[0,1,0] neg_hi:[0,1,0]
	v_pk_add_f16 v13, v15, v13
	v_alignbit_b32 v37, s0, v49, 16
	v_add_f16_e32 v34, v34, v35
	v_pk_fma_f16 v35, 0x3482ba0c, v23, v86 op_sel:[0,0,1] op_sel_hi:[1,1,0] neg_lo:[0,1,0] neg_hi:[0,1,0]
	v_pk_mul_f16 v88, 0xb08e3abb, v32
	v_pk_add_f16 v13, v13, v14
	v_bfi_b32 v14, 0xffff, v45, v46
	v_pk_add_f16 v18, v37, v36
	v_add_f16_e32 v33, v33, v46
	v_fmac_f16_e32 v53, 0x36a6, v29
	v_pk_fma_f16 v36, 0x3b473482, v27, v87 op_sel:[0,0,1] op_sel_hi:[1,1,0] neg_lo:[0,1,0] neg_hi:[0,1,0]
	v_pk_add_f16 v11, v13, v11
	v_pk_add_f16 v13, v7, v14 op_sel:[1,0] op_sel_hi:[0,1]
	v_bfi_b32 v14, 0xffff, v48, v35
	v_pk_fma_f16 v17, 0xb8533beb, v24, v88 op_sel:[0,0,1] op_sel_hi:[1,1,0]
	v_add_f16_e32 v33, v35, v33
	v_add_f16_e32 v37, v7, v53
	v_pk_fma_f16 v53, 0xb8533beb, v24, v88 op_sel:[0,0,1] op_sel_hi:[1,1,0] neg_lo:[0,1,0] neg_hi:[0,1,0]
	v_pk_add_f16 v11, v11, v12
	v_pk_add_f16 v12, v14, v13
	v_bfi_b32 v13, 0xffff, v49, v36
	v_pk_mul_f16 v14, 0xbbad, v29 op_sel_hi:[0,1]
	v_pk_mul_f16 v56, 0x3abbb93d, v28
	v_fmac_f16_e32 v67, 0xb93d, v29
	v_fmac_f16_e32 v52, 0xb93d, v30
	v_add_f16_e32 v33, v36, v33
	v_mul_u32_u24_e32 v35, 40, v3
	v_pk_add_f16 v9, v11, v9
	v_pk_add_f16 v11, v13, v12
	v_pk_fma_f16 v12, 0xb482, v22, v14 op_sel:[0,0,1] op_sel_hi:[0,1,0] neg_lo:[0,1,0] neg_hi:[0,1,0]
	v_pk_mul_f16 v13, 0x3abb, v30 op_sel_hi:[0,1]
	v_bfi_b32 v29, 0xffff, v17, v53
	v_add_f16_e32 v39, v39, v69
	v_fmac_f16_e32 v74, 0xb08e, v30
	v_alignbit_b32 v16, s0, v7, 16
	v_add_f16_e32 v15, v52, v37
	v_pk_fma_f16 v37, 0xba0c3853, v26, v56 op_sel:[0,0,1] op_sel_hi:[1,1,0] neg_lo:[0,1,0] neg_hi:[0,1,0]
	v_add_f16_e32 v33, v53, v33
	v_add3_u32 v25, v25, v35, v21
	v_pk_add_f16 v9, v9, v10
	v_pk_fma_f16 v10, 0xba0c3853, v26, v56 op_sel:[0,0,1] op_sel_hi:[1,1,0]
	v_alignbit_b32 v30, s0, v12, 16
	v_pk_fma_f16 v35, 0x3853, v23, v13 op_sel:[0,0,1] op_sel_hi:[0,1,0] neg_lo:[0,1,0] neg_hi:[0,1,0]
	v_pk_add_f16 v11, v29, v11
	v_pk_mul_f16 v29, 0xb93d, v31 op_sel_hi:[0,1]
	v_pk_fma_f16 v14, 0xb482, v22, v14 op_sel:[0,0,1] op_sel_hi:[0,1,0]
	v_add_f16_e32 v39, v39, v41
	v_add_f16_e32 v41, v7, v67
	v_fmac_f16_e32 v79, 0x3abb, v31
	v_fmac_f16_e32 v82, 0xbbad, v32
	;; [unrolled: 1-line block ×4, first 2 shown]
	v_add_f16_e32 v33, v37, v33
	v_bfi_b32 v10, 0xffff, v10, v37
	v_pk_add_f16 v30, v7, v30
	v_alignbit_b32 v31, s0, v35, 16
	v_pk_fma_f16 v37, 0xba0c, v27, v29 op_sel:[0,0,1] op_sel_hi:[0,1,0] neg_lo:[0,1,0] neg_hi:[0,1,0]
	v_pk_mul_f16 v32, 0x36a6, v32 op_sel_hi:[0,1]
	v_pk_add_f16 v12, v16, v12
	v_pk_add_f16 v7, v7, v14 op_sel:[1,0] op_sel_hi:[0,1]
	v_pk_fma_f16 v13, 0x3853, v23, v13 op_sel:[0,0,1] op_sel_hi:[0,1,0]
	v_fmac_f16_e32 v84, 0x36a6, v28
	v_fmac_f16_e32 v44, 0x3abb, v28
	v_pk_add_f16 v10, v10, v11
	v_pk_add_f16 v11, v31, v30
	v_alignbit_b32 v22, s0, v37, 16
	v_pk_fma_f16 v30, 0x3b47, v24, v32 op_sel:[0,0,1] op_sel_hi:[0,1,0] neg_lo:[0,1,0] neg_hi:[0,1,0]
	v_pk_mul_f16 v28, 0xb08e, v28 op_sel_hi:[0,1]
	v_pk_add_f16 v12, v35, v12
	v_pk_add_f16 v7, v13, v7
	v_pk_fma_f16 v13, 0xba0c, v27, v29 op_sel:[0,0,1] op_sel_hi:[0,1,0]
	v_mul_f16_e32 v71, 0x3b47, v26
	v_pk_mul_f16 v43, 0xba0c3853, v26
	v_add_f16_e32 v41, v74, v41
	v_lshlrev_b32_e32 v18, 16, v18
	v_pk_add_f16 v11, v22, v11
	v_alignbit_b32 v14, s0, v30, 16
	v_pk_fma_f16 v16, 0xbbeb, v26, v28 op_sel:[0,0,1] op_sel_hi:[0,1,0] neg_lo:[0,1,0] neg_hi:[0,1,0]
	v_pk_add_f16 v12, v37, v12
	v_pk_add_f16 v7, v13, v7
	v_pk_fma_f16 v13, 0x3b47, v24, v32 op_sel:[0,0,1] op_sel_hi:[0,1,0]
	v_add_f16_e32 v41, v79, v41
	v_pk_add_f16 v22, v72, v71 neg_lo:[0,1] neg_hi:[0,1]
	v_pk_add_f16 v17, v17, v18
	v_pack_b32_f16 v18, v38, v56
	v_bfi_b32 v23, 0xffff, v42, v43
	v_add_f16_e32 v15, v51, v15
	v_pk_add_f16 v11, v14, v11
	v_alignbit_b32 v14, s0, v16, 16
	v_pk_add_f16 v12, v30, v12
	v_pk_add_f16 v7, v13, v7
	v_pk_fma_f16 v13, 0xbbeb, v26, v28 op_sel:[0,0,1] op_sel_hi:[0,1,0]
	v_add_f16_e32 v41, v82, v41
	v_bfi_b32 v17, 0xffff, v22, v17
	v_pk_add_f16 v18, v18, v23
	v_add_f16_e32 v15, v50, v15
	v_pk_add_f16 v12, v16, v12
	v_pk_add_f16 v7, v13, v7
	;; [unrolled: 1-line block ×3, first 2 shown]
	v_add_f16_e32 v41, v84, v41
	v_pk_add_f16 v13, v17, v18
	v_add_f16_e32 v15, v44, v15
	v_pack_b32_f16 v36, v40, v39
	v_alignbit_b32 v22, v76, v10, 16
	v_pack_b32_f16 v10, v47, v10
	v_pack_b32_f16 v14, v70, v59
	v_alignbit_b32 v12, v12, v7, 16
	v_pack_b32_f16 v7, v11, v7
	v_alignbit_b32 v11, v34, v13, 16
	v_pack_b32_f16 v13, v41, v13
	v_pack_b32_f16 v15, v15, v33
	v_perm_b32 v16, v20, v8, 0x5040100
	ds_store_2addr_b32 v25, v9, v36 offset1:1
	ds_store_2addr_b32 v25, v10, v22 offset0:2 offset1:3
	ds_store_b32 v25, v14 offset:16
	ds_store_2addr_b32 v25, v7, v12 offset0:5 offset1:6
	ds_store_2addr_b32 v25, v13, v11 offset0:7 offset1:8
	;; [unrolled: 1-line block ×3, first 2 shown]
.LBB0_20:
	s_wait_alu 0xfffe
	s_or_b32 exec_lo, exec_lo, s1
	v_and_b32_e32 v7, 0xff, v3
	global_wb scope:SCOPE_SE
	s_wait_dscnt 0x0
	s_barrier_signal -1
	s_barrier_wait -1
	global_inv scope:SCOPE_SE
	v_mul_lo_u16 v7, 0x75, v7
	v_add_nc_u32_e32 v22, 0x200, v4
	v_cmp_gt_u32_e64 s0, 11, v3
	s_delay_alu instid0(VALU_DEP_3) | instskip(NEXT) | instid1(VALU_DEP_1)
	v_lshrrev_b16 v7, 8, v7
	v_sub_nc_u16 v9, v3, v7
	s_delay_alu instid0(VALU_DEP_1) | instskip(NEXT) | instid1(VALU_DEP_1)
	v_lshrrev_b16 v9, 1, v9
	v_and_b32_e32 v9, 0x7f, v9
	s_delay_alu instid0(VALU_DEP_1) | instskip(NEXT) | instid1(VALU_DEP_1)
	v_add_nc_u16 v7, v9, v7
	v_lshrrev_b16 v7, 3, v7
	s_delay_alu instid0(VALU_DEP_1) | instskip(SKIP_1) | instid1(VALU_DEP_2)
	v_mul_lo_u16 v9, v7, 11
	v_and_b32_e32 v7, 0xffff, v7
	v_sub_nc_u16 v9, v3, v9
	s_delay_alu instid0(VALU_DEP_2) | instskip(NEXT) | instid1(VALU_DEP_2)
	v_mad_u32_u24 v7, 0x1b8, v7, 0
	v_and_b32_e32 v29, 0xff, v9
	s_delay_alu instid0(VALU_DEP_1) | instskip(SKIP_1) | instid1(VALU_DEP_2)
	v_mul_u32_u24_e32 v9, 9, v29
	v_lshlrev_b32_e32 v29, 2, v29
	v_lshlrev_b32_e32 v17, 2, v9
	s_delay_alu instid0(VALU_DEP_2)
	v_add3_u32 v29, v7, v29, v21
	s_clause 0x2
	global_load_b128 v[9:12], v17, s[8:9]
	global_load_b128 v[13:16], v17, s[8:9] offset:16
	global_load_b32 v30, v17, s[8:9] offset:32
	ds_load_b32 v31, v19
	ds_load_2addr_b32 v[17:18], v4 offset0:165 offset1:198
	ds_load_b32 v32, v4 offset:1188
	ds_load_2addr_b32 v[23:24], v4 offset0:33 offset1:66
	ds_load_2addr_b32 v[25:26], v4 offset0:99 offset1:132
	;; [unrolled: 1-line block ×3, first 2 shown]
	global_wb scope:SCOPE_SE
	s_wait_loadcnt_dscnt 0x0
	s_barrier_signal -1
	s_barrier_wait -1
	global_inv scope:SCOPE_SE
	v_lshrrev_b32_e32 v33, 16, v31
	v_lshrrev_b32_e32 v34, 16, v18
	;; [unrolled: 1-line block ×19, first 2 shown]
	v_mul_f16_e32 v50, v7, v36
	v_mul_f16_e32 v7, v7, v23
	;; [unrolled: 1-line block ×18, first 2 shown]
	v_fma_f16 v23, v9, v23, -v50
	v_fmac_f16_e32 v7, v9, v36
	v_fma_f16 v9, v10, v24, -v51
	v_fmac_f16_e32 v21, v10, v37
	;; [unrolled: 2-line block ×9, first 2 shown]
	v_add_f16_e32 v17, v31, v9
	v_add_f16_e32 v18, v11, v13
	v_sub_f16_e32 v26, v9, v11
	v_sub_f16_e32 v27, v15, v13
	;; [unrolled: 1-line block ×6, first 2 shown]
	v_add_f16_e32 v41, v23, v10
	v_add_f16_e32 v42, v12, v14
	;; [unrolled: 1-line block ×8, first 2 shown]
	v_sub_f16_e32 v36, v11, v13
	v_add_f16_e32 v39, v21, v48
	v_sub_f16_e32 v50, v43, v49
	v_sub_f16_e32 v52, v10, v12
	;; [unrolled: 1-line block ×3, first 2 shown]
	v_add_f16_e32 v57, v7, v43
	v_sub_f16_e32 v10, v10, v16
	v_sub_f16_e32 v59, v12, v14
	v_add_f16_e32 v11, v17, v11
	v_fma_f16 v17, -0.5, v18, v31
	v_add_f16_e32 v18, v26, v27
	v_add_f16_e32 v26, v30, v32
	v_add_f16_e32 v30, v37, v38
	v_add_f16_e32 v12, v41, v12
	v_fma_f16 v32, -0.5, v42, v23
	v_fma_f16 v38, -0.5, v58, v7
	v_sub_f16_e32 v51, v45, v47
	v_add_f16_e32 v27, v34, v44
	v_fmac_f16_e32 v23, -0.5, v54
	v_fmac_f16_e32 v7, -0.5, v62
	v_sub_f16_e32 v24, v21, v48
	v_sub_f16_e32 v21, v44, v21
	v_sub_f16_e32 v40, v46, v48
	v_sub_f16_e32 v53, v16, v14
	v_sub_f16_e32 v56, v14, v16
	v_sub_f16_e32 v60, v43, v45
	v_sub_f16_e32 v61, v49, v47
	v_sub_f16_e32 v43, v45, v43
	v_sub_f16_e32 v63, v47, v49
	v_fmac_f16_e32 v31, -0.5, v28
	v_fma_f16 v28, -0.5, v35, v33
	v_fmac_f16_e32 v33, -0.5, v39
	v_add_f16_e32 v37, v57, v45
	v_add_f16_e32 v12, v12, v14
	v_fmamk_f16 v14, v50, 0x3b9c, v32
	v_fmamk_f16 v45, v10, 0xbb9c, v38
	v_sub_f16_e32 v25, v44, v46
	v_add_f16_e32 v27, v27, v46
	v_fmamk_f16 v44, v51, 0xbb9c, v23
	v_fmac_f16_e32 v23, 0x3b9c, v51
	v_fmamk_f16 v46, v59, 0x3b9c, v7
	v_fmac_f16_e32 v7, 0xbb9c, v59
	v_fmac_f16_e32 v32, 0xbb9c, v50
	;; [unrolled: 1-line block ×3, first 2 shown]
	v_sub_f16_e32 v9, v9, v15
	v_add_f16_e32 v21, v21, v40
	v_add_f16_e32 v34, v52, v53
	;; [unrolled: 1-line block ×5, first 2 shown]
	v_fmamk_f16 v43, v36, 0x3b9c, v33
	v_fmac_f16_e32 v33, 0xbb9c, v36
	v_add_f16_e32 v37, v37, v47
	v_fmac_f16_e32 v14, 0x38b4, v51
	v_fmac_f16_e32 v45, 0xb8b4, v59
	v_add_f16_e32 v35, v55, v56
	v_fmamk_f16 v13, v24, 0x3b9c, v17
	v_fmac_f16_e32 v17, 0xbb9c, v24
	v_fmamk_f16 v41, v25, 0xbb9c, v31
	v_fmac_f16_e32 v31, 0x3b9c, v25
	v_fmac_f16_e32 v44, 0x38b4, v50
	;; [unrolled: 1-line block ×7, first 2 shown]
	v_fmamk_f16 v42, v9, 0xbb9c, v28
	v_fmac_f16_e32 v28, 0x3b9c, v9
	v_add_f16_e32 v11, v11, v15
	v_add_f16_e32 v15, v27, v48
	v_fmac_f16_e32 v43, 0xb8b4, v9
	v_fmac_f16_e32 v33, 0x38b4, v9
	v_add_f16_e32 v9, v12, v16
	v_add_f16_e32 v12, v37, v49
	v_fmac_f16_e32 v14, 0x34f2, v34
	v_fmac_f16_e32 v45, 0x34f2, v39
	;; [unrolled: 1-line block ×13, first 2 shown]
	v_add_f16_e32 v10, v11, v9
	v_add_f16_e32 v16, v15, v12
	v_sub_f16_e32 v9, v11, v9
	v_sub_f16_e32 v11, v15, v12
	v_mul_f16_e32 v12, 0x38b4, v45
	v_mul_f16_e32 v24, 0xb8b4, v14
	v_fmac_f16_e32 v13, 0x34f2, v18
	v_fmac_f16_e32 v17, 0x34f2, v18
	v_fmac_f16_e32 v41, 0x34f2, v26
	v_fmac_f16_e32 v31, 0x34f2, v26
	v_mul_f16_e32 v15, 0x3b9c, v46
	v_mul_f16_e32 v18, 0x34f2, v23
	;; [unrolled: 1-line block ×4, first 2 shown]
	v_fmac_f16_e32 v28, 0x38b4, v36
	v_fmac_f16_e32 v43, 0x34f2, v21
	;; [unrolled: 1-line block ×3, first 2 shown]
	v_mul_f16_e32 v21, 0x3a79, v32
	v_mul_f16_e32 v27, 0x3a79, v38
	v_fmac_f16_e32 v42, 0x34f2, v30
	v_fmac_f16_e32 v12, 0x3a79, v14
	;; [unrolled: 1-line block ×4, first 2 shown]
	v_fma_f16 v7, v7, 0x3b9c, -v18
	v_fmac_f16_e32 v25, 0x34f2, v46
	v_fma_f16 v14, v23, 0xbb9c, -v26
	v_fmac_f16_e32 v28, 0x34f2, v30
	v_pack_b32_f16 v10, v10, v16
	v_pack_b32_f16 v9, v9, v11
	v_fma_f16 v11, v38, 0x38b4, -v21
	v_fma_f16 v16, v32, 0xb8b4, -v27
	v_add_f16_e32 v18, v13, v12
	v_add_f16_e32 v30, v42, v24
	;; [unrolled: 1-line block ×8, first 2 shown]
	v_sub_f16_e32 v12, v13, v12
	v_sub_f16_e32 v13, v41, v15
	;; [unrolled: 1-line block ×8, first 2 shown]
	v_pack_b32_f16 v16, v18, v30
	v_pack_b32_f16 v18, v23, v32
	;; [unrolled: 1-line block ×8, first 2 shown]
	ds_store_2addr_b32 v29, v10, v16 offset1:11
	ds_store_2addr_b32 v29, v18, v23 offset0:22 offset1:33
	ds_store_2addr_b32 v29, v24, v9 offset0:44 offset1:55
	;; [unrolled: 1-line block ×4, first 2 shown]
	global_wb scope:SCOPE_SE
	s_wait_dscnt 0x0
	s_barrier_signal -1
	s_barrier_wait -1
	global_inv scope:SCOPE_SE
	ds_load_b32 v24, v19
	ds_load_2addr_b32 v[17:18], v4 offset0:110 offset1:143
	ds_load_2addr_b32 v[13:14], v4 offset0:176 offset1:220
	ds_load_2addr_b32 v[9:10], v4 offset0:33 offset1:66
	ds_load_2addr_b32 v[15:16], v22 offset0:125 offset1:158
                                        ; implicit-def: $vgpr23
                                        ; implicit-def: $vgpr19
	s_and_saveexec_b32 s1, s0
	s_cbranch_execz .LBB0_22
; %bb.21:
	ds_load_2addr_b32 v[7:8], v4 offset0:99 offset1:209
	ds_load_b32 v19, v4 offset:1276
	s_wait_dscnt 0x1
	v_lshrrev_b32_e32 v21, 16, v7
	s_wait_dscnt 0x0
	v_lshrrev_b32_e32 v23, 16, v19
	v_lshrrev_b32_e32 v20, 16, v8
.LBB0_22:
	s_wait_alu 0xfffe
	s_or_b32 exec_lo, exec_lo, s1
	v_dual_mov_b32 v12, 0 :: v_dual_lshlrev_b32 v11, 1, v3
	s_wait_dscnt 0x2
	v_lshrrev_b32_e32 v37, 16, v14
	v_lshrrev_b32_e32 v38, 16, v17
	s_wait_dscnt 0x0
	v_lshrrev_b32_e32 v33, 16, v16
	v_dual_mov_b32 v28, v12 :: v_dual_add_nc_u32 v27, 0x42, v11
	v_lshlrev_b64_e32 v[25:26], 2, v[11:12]
	v_add_nc_u32_e32 v11, 0x84, v11
	v_lshrrev_b32_e32 v34, 16, v13
	v_lshrrev_b32_e32 v35, 16, v15
	v_lshlrev_b64_e32 v[27:28], 2, v[27:28]
	v_lshrrev_b32_e32 v36, 16, v18
	v_add_co_u32 v25, s1, s8, v25
	v_lshlrev_b64_e32 v[29:30], 2, v[11:12]
	s_wait_alu 0xf1ff
	v_add_co_ci_u32_e64 v26, s1, s9, v26, s1
	v_add_co_u32 v27, s1, s8, v27
	s_wait_alu 0xf1ff
	v_add_co_ci_u32_e64 v28, s1, s9, v28, s1
	v_add_co_u32 v29, s1, s8, v29
	global_load_b64 v[25:26], v[25:26], off offset:396
	s_wait_alu 0xf1ff
	v_add_co_ci_u32_e64 v30, s1, s9, v30, s1
	s_clause 0x1
	global_load_b64 v[27:28], v[27:28], off offset:396
	global_load_b64 v[29:30], v[29:30], off offset:396
	v_lshrrev_b32_e32 v11, 16, v24
	v_lshrrev_b32_e32 v31, 16, v9
	;; [unrolled: 1-line block ×3, first 2 shown]
	global_wb scope:SCOPE_SE
	s_wait_loadcnt 0x0
	s_barrier_signal -1
	s_barrier_wait -1
	global_inv scope:SCOPE_SE
	v_lshrrev_b32_e32 v39, 16, v25
	v_lshrrev_b32_e32 v40, 16, v26
	v_lshrrev_b32_e32 v43, 16, v27
	s_delay_alu instid0(VALU_DEP_3) | instskip(SKIP_1) | instid1(VALU_DEP_4)
	v_mul_f16_e32 v41, v39, v38
	v_mul_f16_e32 v39, v39, v17
	;; [unrolled: 1-line block ×4, first 2 shown]
	v_lshrrev_b32_e32 v44, 16, v28
	v_lshrrev_b32_e32 v45, 16, v29
	;; [unrolled: 1-line block ×3, first 2 shown]
	v_fma_f16 v17, v25, v17, -v41
	v_fmac_f16_e32 v39, v25, v38
	v_fma_f16 v14, v26, v14, -v42
	v_fmac_f16_e32 v40, v26, v37
	v_mul_f16_e32 v25, v43, v36
	v_mul_f16_e32 v26, v43, v18
	;; [unrolled: 1-line block ×8, first 2 shown]
	v_fma_f16 v18, v27, v18, -v25
	v_fmac_f16_e32 v26, v27, v36
	v_fma_f16 v15, v28, v15, -v37
	v_fmac_f16_e32 v38, v28, v35
	;; [unrolled: 2-line block ×4, first 2 shown]
	v_add_f16_e32 v25, v24, v17
	v_add_f16_e32 v29, v11, v39
	;; [unrolled: 1-line block ×4, first 2 shown]
	v_sub_f16_e32 v28, v39, v40
	v_sub_f16_e32 v17, v17, v14
	v_add_f16_e32 v14, v25, v14
	v_add_f16_e32 v25, v29, v40
	v_fmac_f16_e32 v11, -0.5, v30
	v_add_f16_e32 v29, v18, v15
	v_sub_f16_e32 v30, v26, v38
	v_add_f16_e32 v33, v31, v26
	v_add_f16_e32 v26, v26, v38
	;; [unrolled: 1-line block ×4, first 2 shown]
	v_fmac_f16_e32 v24, -0.5, v27
	v_add_f16_e32 v27, v9, v18
	v_add_f16_e32 v34, v10, v13
	;; [unrolled: 1-line block ×3, first 2 shown]
	v_sub_f16_e32 v18, v18, v15
	v_sub_f16_e32 v36, v42, v44
	;; [unrolled: 1-line block ×3, first 2 shown]
	v_fma_f16 v9, -0.5, v29, v9
	v_fmac_f16_e32 v31, -0.5, v26
	v_fmac_f16_e32 v10, -0.5, v35
	;; [unrolled: 1-line block ×3, first 2 shown]
	v_fmamk_f16 v40, v28, 0x3aee, v24
	v_fmac_f16_e32 v24, 0xbaee, v28
	v_fmamk_f16 v28, v17, 0xbaee, v11
	v_fmac_f16_e32 v11, 0x3aee, v17
	v_add_f16_e32 v15, v27, v15
	v_add_f16_e32 v17, v33, v38
	;; [unrolled: 1-line block ×4, first 2 shown]
	v_pack_b32_f16 v14, v14, v25
	v_fmamk_f16 v25, v30, 0x3aee, v9
	v_fmamk_f16 v27, v18, 0xbaee, v31
	v_fmac_f16_e32 v31, 0x3aee, v18
	v_fmamk_f16 v18, v36, 0x3aee, v10
	v_fmamk_f16 v29, v13, 0xbaee, v32
	v_fmac_f16_e32 v9, 0xbaee, v30
	v_fmac_f16_e32 v10, 0xbaee, v36
	;; [unrolled: 1-line block ×3, first 2 shown]
	v_pack_b32_f16 v11, v24, v11
	v_pack_b32_f16 v15, v15, v17
	;; [unrolled: 1-line block ×8, first 2 shown]
	ds_store_b32 v4, v11 offset:880
	ds_store_2addr_b32 v4, v14, v15 offset1:33
	ds_store_2addr_b32 v4, v16, v13 offset0:66 offset1:110
	ds_store_2addr_b32 v4, v17, v18 offset0:143 offset1:176
	ds_store_2addr_b32 v22, v9, v10 offset0:125 offset1:158
	s_and_saveexec_b32 s1, s0
	s_cbranch_execz .LBB0_24
; %bb.23:
	v_cndmask_b32_e64 v9, -11, 0x63, s0
	s_delay_alu instid0(VALU_DEP_1) | instskip(NEXT) | instid1(VALU_DEP_1)
	v_add_lshl_u32 v11, v3, v9, 1
	v_lshlrev_b64_e32 v[9:10], 2, v[11:12]
	s_delay_alu instid0(VALU_DEP_1) | instskip(SKIP_1) | instid1(VALU_DEP_2)
	v_add_co_u32 v9, s0, s8, v9
	s_wait_alu 0xf1ff
	v_add_co_ci_u32_e64 v10, s0, s9, v10, s0
	global_load_b64 v[9:10], v[9:10], off offset:396
	s_wait_loadcnt 0x0
	v_lshrrev_b32_e32 v11, 16, v9
	v_lshrrev_b32_e32 v12, 16, v10
	s_delay_alu instid0(VALU_DEP_2) | instskip(SKIP_1) | instid1(VALU_DEP_3)
	v_mul_f16_e32 v13, v20, v11
	v_mul_f16_e32 v11, v8, v11
	;; [unrolled: 1-line block ×4, first 2 shown]
	s_delay_alu instid0(VALU_DEP_4) | instskip(NEXT) | instid1(VALU_DEP_4)
	v_fma_f16 v8, v8, v9, -v13
	v_fmac_f16_e32 v11, v20, v9
	s_delay_alu instid0(VALU_DEP_4) | instskip(NEXT) | instid1(VALU_DEP_4)
	v_fmac_f16_e32 v14, v23, v10
	v_fma_f16 v9, v19, v10, -v12
	s_delay_alu instid0(VALU_DEP_3) | instskip(NEXT) | instid1(VALU_DEP_3)
	v_add_f16_e32 v15, v21, v11
	v_add_f16_e32 v10, v11, v14
	s_delay_alu instid0(VALU_DEP_3)
	v_add_f16_e32 v13, v8, v9
	v_sub_f16_e32 v12, v8, v9
	v_add_f16_e32 v8, v7, v8
	v_sub_f16_e32 v11, v11, v14
	v_fma_f16 v10, -0.5, v10, v21
	v_fma_f16 v7, -0.5, v13, v7
	v_add_f16_e32 v13, v15, v14
	v_add_f16_e32 v8, v8, v9
	s_delay_alu instid0(VALU_DEP_4) | instskip(SKIP_4) | instid1(VALU_DEP_3)
	v_fmamk_f16 v9, v12, 0x3aee, v10
	v_fmac_f16_e32 v10, 0xbaee, v12
	v_fmamk_f16 v12, v11, 0xbaee, v7
	v_fmac_f16_e32 v7, 0x3aee, v11
	v_pack_b32_f16 v8, v8, v13
	v_pack_b32_f16 v9, v12, v9
	s_delay_alu instid0(VALU_DEP_3)
	v_pack_b32_f16 v7, v7, v10
	ds_store_2addr_b32 v4, v8, v7 offset0:99 offset1:209
	ds_store_b32 v4, v9 offset:1276
.LBB0_24:
	s_wait_alu 0xfffe
	s_or_b32 exec_lo, exec_lo, s1
	global_wb scope:SCOPE_SE
	s_wait_dscnt 0x0
	s_barrier_signal -1
	s_barrier_wait -1
	global_inv scope:SCOPE_SE
	s_and_saveexec_b32 s0, vcc_lo
	s_cbranch_execz .LBB0_26
; %bb.25:
	v_mul_lo_u32 v7, s3, v5
	v_mul_lo_u32 v8, s2, v6
	v_mad_co_u64_u32 v[5:6], null, s2, v5, 0
	v_mov_b32_e32 v4, 0
	v_lshl_add_u32 v29, v3, 2, v0
	v_lshlrev_b64_e32 v[0:1], 2, v[1:2]
	v_add_nc_u32_e32 v21, 0xc6, v3
	v_add_nc_u32_e32 v23, 0xe7, v3
	;; [unrolled: 1-line block ×3, first 2 shown]
	v_add3_u32 v6, v6, v8, v7
	v_add_nc_u32_e32 v7, 33, v3
	v_dual_mov_b32 v8, v4 :: v_dual_add_nc_u32 v9, 0x42, v3
	v_lshlrev_b64_e32 v[15:16], 2, v[3:4]
	s_delay_alu instid0(VALU_DEP_4)
	v_lshlrev_b64_e32 v[5:6], 2, v[5:6]
	v_dual_mov_b32 v10, v4 :: v_dual_add_nc_u32 v11, 0x63, v3
	v_mov_b32_e32 v12, v4
	v_mov_b32_e32 v20, v4
	;; [unrolled: 1-line block ×3, first 2 shown]
	v_add_co_u32 v2, vcc_lo, s6, v5
	s_wait_alu 0xfffd
	v_add_co_ci_u32_e32 v5, vcc_lo, s7, v6, vcc_lo
	ds_load_2addr_b32 v[13:14], v29 offset1:33
	v_add_co_u32 v31, vcc_lo, v2, v0
	s_wait_alu 0xfffd
	v_add_co_ci_u32_e32 v32, vcc_lo, v5, v1, vcc_lo
	v_lshlrev_b64_e32 v[0:1], 2, v[7:8]
	s_delay_alu instid0(VALU_DEP_3)
	v_add_co_u32 v5, vcc_lo, v31, v15
	v_lshlrev_b64_e32 v[7:8], 2, v[9:10]
	s_wait_alu 0xfffd
	v_add_co_ci_u32_e32 v6, vcc_lo, v32, v16, vcc_lo
	v_dual_mov_b32 v16, v4 :: v_dual_add_nc_u32 v15, 0x84, v3
	v_add_nc_u32_e32 v19, 0xa5, v3
	v_add_co_u32 v0, vcc_lo, v31, v0
	v_lshlrev_b64_e32 v[11:12], 2, v[11:12]
	s_wait_alu 0xfffd
	v_add_co_ci_u32_e32 v1, vcc_lo, v32, v1, vcc_lo
	v_add_co_u32 v7, vcc_lo, v31, v7
	v_lshlrev_b64_e32 v[15:16], 2, v[15:16]
	s_wait_alu 0xfffd
	v_add_co_ci_u32_e32 v8, vcc_lo, v32, v8, vcc_lo
	v_add_co_u32 v11, vcc_lo, v31, v11
	v_lshlrev_b64_e32 v[19:20], 2, v[19:20]
	v_mov_b32_e32 v24, v4
	ds_load_2addr_b32 v[9:10], v29 offset0:66 offset1:99
	s_wait_alu 0xfffd
	v_add_co_ci_u32_e32 v12, vcc_lo, v32, v12, vcc_lo
	v_add_co_u32 v15, vcc_lo, v31, v15
	v_lshlrev_b64_e32 v[21:22], 2, v[21:22]
	v_add_nc_u32_e32 v2, 0x400, v29
	ds_load_2addr_b32 v[17:18], v29 offset0:132 offset1:165
	v_dual_mov_b32 v28, v4 :: v_dual_add_nc_u32 v3, 0x129, v3
	s_wait_alu 0xfffd
	v_add_co_ci_u32_e32 v16, vcc_lo, v32, v16, vcc_lo
	v_add_co_u32 v19, vcc_lo, v31, v19
	ds_load_2addr_b32 v[25:26], v29 offset0:198 offset1:231
	v_lshlrev_b64_e32 v[23:24], 2, v[23:24]
	s_wait_alu 0xfffd
	v_add_co_ci_u32_e32 v20, vcc_lo, v32, v20, vcc_lo
	ds_load_2addr_b32 v[29:30], v2 offset0:8 offset1:41
	v_add_co_u32 v21, vcc_lo, v31, v21
	v_lshlrev_b64_e32 v[27:28], 2, v[27:28]
	s_wait_alu 0xfffd
	v_add_co_ci_u32_e32 v22, vcc_lo, v32, v22, vcc_lo
	v_add_co_u32 v23, vcc_lo, v31, v23
	v_lshlrev_b64_e32 v[2:3], 2, v[3:4]
	s_wait_alu 0xfffd
	v_add_co_ci_u32_e32 v24, vcc_lo, v32, v24, vcc_lo
	v_add_co_u32 v27, vcc_lo, v31, v27
	s_wait_alu 0xfffd
	v_add_co_ci_u32_e32 v28, vcc_lo, v32, v28, vcc_lo
	v_add_co_u32 v2, vcc_lo, v31, v2
	s_wait_alu 0xfffd
	v_add_co_ci_u32_e32 v3, vcc_lo, v32, v3, vcc_lo
	s_wait_dscnt 0x4
	s_clause 0x1
	global_store_b32 v[5:6], v13, off
	global_store_b32 v[0:1], v14, off
	s_wait_dscnt 0x3
	s_clause 0x1
	global_store_b32 v[7:8], v9, off
	global_store_b32 v[11:12], v10, off
	s_wait_dscnt 0x2
	s_clause 0x1
	global_store_b32 v[15:16], v17, off
	global_store_b32 v[19:20], v18, off
	s_wait_dscnt 0x1
	s_clause 0x1
	global_store_b32 v[21:22], v25, off
	global_store_b32 v[23:24], v26, off
	s_wait_dscnt 0x0
	s_clause 0x1
	global_store_b32 v[27:28], v29, off
	global_store_b32 v[2:3], v30, off
.LBB0_26:
	s_nop 0
	s_sendmsg sendmsg(MSG_DEALLOC_VGPRS)
	s_endpgm
	.section	.rodata,"a",@progbits
	.p2align	6, 0x0
	.amdhsa_kernel fft_rtc_fwd_len330_factors_11_10_3_wgs_99_tpt_33_half_op_CI_CI_unitstride_sbrr_C2R_dirReg
		.amdhsa_group_segment_fixed_size 0
		.amdhsa_private_segment_fixed_size 0
		.amdhsa_kernarg_size 104
		.amdhsa_user_sgpr_count 2
		.amdhsa_user_sgpr_dispatch_ptr 0
		.amdhsa_user_sgpr_queue_ptr 0
		.amdhsa_user_sgpr_kernarg_segment_ptr 1
		.amdhsa_user_sgpr_dispatch_id 0
		.amdhsa_user_sgpr_private_segment_size 0
		.amdhsa_wavefront_size32 1
		.amdhsa_uses_dynamic_stack 0
		.amdhsa_enable_private_segment 0
		.amdhsa_system_sgpr_workgroup_id_x 1
		.amdhsa_system_sgpr_workgroup_id_y 0
		.amdhsa_system_sgpr_workgroup_id_z 0
		.amdhsa_system_sgpr_workgroup_info 0
		.amdhsa_system_vgpr_workitem_id 0
		.amdhsa_next_free_vgpr 89
		.amdhsa_next_free_sgpr 39
		.amdhsa_reserve_vcc 1
		.amdhsa_float_round_mode_32 0
		.amdhsa_float_round_mode_16_64 0
		.amdhsa_float_denorm_mode_32 3
		.amdhsa_float_denorm_mode_16_64 3
		.amdhsa_fp16_overflow 0
		.amdhsa_workgroup_processor_mode 1
		.amdhsa_memory_ordered 1
		.amdhsa_forward_progress 0
		.amdhsa_round_robin_scheduling 0
		.amdhsa_exception_fp_ieee_invalid_op 0
		.amdhsa_exception_fp_denorm_src 0
		.amdhsa_exception_fp_ieee_div_zero 0
		.amdhsa_exception_fp_ieee_overflow 0
		.amdhsa_exception_fp_ieee_underflow 0
		.amdhsa_exception_fp_ieee_inexact 0
		.amdhsa_exception_int_div_zero 0
	.end_amdhsa_kernel
	.text
.Lfunc_end0:
	.size	fft_rtc_fwd_len330_factors_11_10_3_wgs_99_tpt_33_half_op_CI_CI_unitstride_sbrr_C2R_dirReg, .Lfunc_end0-fft_rtc_fwd_len330_factors_11_10_3_wgs_99_tpt_33_half_op_CI_CI_unitstride_sbrr_C2R_dirReg
                                        ; -- End function
	.section	.AMDGPU.csdata,"",@progbits
; Kernel info:
; codeLenInByte = 8676
; NumSgprs: 41
; NumVgprs: 89
; ScratchSize: 0
; MemoryBound: 0
; FloatMode: 240
; IeeeMode: 1
; LDSByteSize: 0 bytes/workgroup (compile time only)
; SGPRBlocks: 5
; VGPRBlocks: 11
; NumSGPRsForWavesPerEU: 41
; NumVGPRsForWavesPerEU: 89
; Occupancy: 16
; WaveLimiterHint : 1
; COMPUTE_PGM_RSRC2:SCRATCH_EN: 0
; COMPUTE_PGM_RSRC2:USER_SGPR: 2
; COMPUTE_PGM_RSRC2:TRAP_HANDLER: 0
; COMPUTE_PGM_RSRC2:TGID_X_EN: 1
; COMPUTE_PGM_RSRC2:TGID_Y_EN: 0
; COMPUTE_PGM_RSRC2:TGID_Z_EN: 0
; COMPUTE_PGM_RSRC2:TIDIG_COMP_CNT: 0
	.text
	.p2alignl 7, 3214868480
	.fill 96, 4, 3214868480
	.type	__hip_cuid_2db59bdbf4fd4101,@object ; @__hip_cuid_2db59bdbf4fd4101
	.section	.bss,"aw",@nobits
	.globl	__hip_cuid_2db59bdbf4fd4101
__hip_cuid_2db59bdbf4fd4101:
	.byte	0                               ; 0x0
	.size	__hip_cuid_2db59bdbf4fd4101, 1

	.ident	"AMD clang version 19.0.0git (https://github.com/RadeonOpenCompute/llvm-project roc-6.4.0 25133 c7fe45cf4b819c5991fe208aaa96edf142730f1d)"
	.section	".note.GNU-stack","",@progbits
	.addrsig
	.addrsig_sym __hip_cuid_2db59bdbf4fd4101
	.amdgpu_metadata
---
amdhsa.kernels:
  - .args:
      - .actual_access:  read_only
        .address_space:  global
        .offset:         0
        .size:           8
        .value_kind:     global_buffer
      - .offset:         8
        .size:           8
        .value_kind:     by_value
      - .actual_access:  read_only
        .address_space:  global
        .offset:         16
        .size:           8
        .value_kind:     global_buffer
      - .actual_access:  read_only
        .address_space:  global
        .offset:         24
        .size:           8
        .value_kind:     global_buffer
      - .actual_access:  read_only
        .address_space:  global
        .offset:         32
        .size:           8
        .value_kind:     global_buffer
      - .offset:         40
        .size:           8
        .value_kind:     by_value
      - .actual_access:  read_only
        .address_space:  global
        .offset:         48
        .size:           8
        .value_kind:     global_buffer
      - .actual_access:  read_only
        .address_space:  global
        .offset:         56
        .size:           8
        .value_kind:     global_buffer
      - .offset:         64
        .size:           4
        .value_kind:     by_value
      - .actual_access:  read_only
        .address_space:  global
        .offset:         72
        .size:           8
        .value_kind:     global_buffer
      - .actual_access:  read_only
        .address_space:  global
        .offset:         80
        .size:           8
        .value_kind:     global_buffer
      - .actual_access:  read_only
        .address_space:  global
        .offset:         88
        .size:           8
        .value_kind:     global_buffer
      - .actual_access:  write_only
        .address_space:  global
        .offset:         96
        .size:           8
        .value_kind:     global_buffer
    .group_segment_fixed_size: 0
    .kernarg_segment_align: 8
    .kernarg_segment_size: 104
    .language:       OpenCL C
    .language_version:
      - 2
      - 0
    .max_flat_workgroup_size: 99
    .name:           fft_rtc_fwd_len330_factors_11_10_3_wgs_99_tpt_33_half_op_CI_CI_unitstride_sbrr_C2R_dirReg
    .private_segment_fixed_size: 0
    .sgpr_count:     41
    .sgpr_spill_count: 0
    .symbol:         fft_rtc_fwd_len330_factors_11_10_3_wgs_99_tpt_33_half_op_CI_CI_unitstride_sbrr_C2R_dirReg.kd
    .uniform_work_group_size: 1
    .uses_dynamic_stack: false
    .vgpr_count:     89
    .vgpr_spill_count: 0
    .wavefront_size: 32
    .workgroup_processor_mode: 1
amdhsa.target:   amdgcn-amd-amdhsa--gfx1201
amdhsa.version:
  - 1
  - 2
...

	.end_amdgpu_metadata
